;; amdgpu-corpus repo=ROCm/rocFFT kind=compiled arch=gfx906 opt=O3
	.text
	.amdgcn_target "amdgcn-amd-amdhsa--gfx906"
	.amdhsa_code_object_version 6
	.protected	fft_rtc_fwd_len1584_factors_4_2_2_11_3_3_wgs_176_tpt_176_halfLds_half_op_CI_CI_unitstride_sbrr_R2C_dirReg ; -- Begin function fft_rtc_fwd_len1584_factors_4_2_2_11_3_3_wgs_176_tpt_176_halfLds_half_op_CI_CI_unitstride_sbrr_R2C_dirReg
	.globl	fft_rtc_fwd_len1584_factors_4_2_2_11_3_3_wgs_176_tpt_176_halfLds_half_op_CI_CI_unitstride_sbrr_R2C_dirReg
	.p2align	8
	.type	fft_rtc_fwd_len1584_factors_4_2_2_11_3_3_wgs_176_tpt_176_halfLds_half_op_CI_CI_unitstride_sbrr_R2C_dirReg,@function
fft_rtc_fwd_len1584_factors_4_2_2_11_3_3_wgs_176_tpt_176_halfLds_half_op_CI_CI_unitstride_sbrr_R2C_dirReg: ; @fft_rtc_fwd_len1584_factors_4_2_2_11_3_3_wgs_176_tpt_176_halfLds_half_op_CI_CI_unitstride_sbrr_R2C_dirReg
; %bb.0:
	s_load_dwordx4 s[8:11], s[4:5], 0x58
	s_load_dwordx4 s[12:15], s[4:5], 0x0
	;; [unrolled: 1-line block ×3, first 2 shown]
	v_mul_u32_u24_e32 v1, 0x175, v0
	v_mov_b32_e32 v5, 0
	v_mov_b32_e32 v10, 0
	s_waitcnt lgkmcnt(0)
	v_cmp_lt_u64_e64 s[0:1], s[14:15], 2
	v_add_u32_sdwa v7, s6, v1 dst_sel:DWORD dst_unused:UNUSED_PAD src0_sel:DWORD src1_sel:WORD_1
	v_mov_b32_e32 v8, v5
	s_and_b64 vcc, exec, s[0:1]
	v_mov_b32_e32 v11, 0
	s_cbranch_vccnz .LBB0_8
; %bb.1:
	s_load_dwordx2 s[0:1], s[4:5], 0x10
	s_add_u32 s2, s18, 8
	s_addc_u32 s3, s19, 0
	s_add_u32 s6, s16, 8
	s_addc_u32 s7, s17, 0
	v_mov_b32_e32 v10, 0
	s_waitcnt lgkmcnt(0)
	s_add_u32 s20, s0, 8
	v_mov_b32_e32 v11, 0
	v_mov_b32_e32 v1, v10
	s_addc_u32 s21, s1, 0
	s_mov_b64 s[22:23], 1
	v_mov_b32_e32 v2, v11
.LBB0_2:                                ; =>This Inner Loop Header: Depth=1
	s_load_dwordx2 s[24:25], s[20:21], 0x0
                                        ; implicit-def: $vgpr3_vgpr4
	s_waitcnt lgkmcnt(0)
	v_or_b32_e32 v6, s25, v8
	v_cmp_ne_u64_e32 vcc, 0, v[5:6]
	s_and_saveexec_b64 s[0:1], vcc
	s_xor_b64 s[26:27], exec, s[0:1]
	s_cbranch_execz .LBB0_4
; %bb.3:                                ;   in Loop: Header=BB0_2 Depth=1
	v_cvt_f32_u32_e32 v3, s24
	v_cvt_f32_u32_e32 v4, s25
	s_sub_u32 s0, 0, s24
	s_subb_u32 s1, 0, s25
	v_mac_f32_e32 v3, 0x4f800000, v4
	v_rcp_f32_e32 v3, v3
	v_mul_f32_e32 v3, 0x5f7ffffc, v3
	v_mul_f32_e32 v4, 0x2f800000, v3
	v_trunc_f32_e32 v4, v4
	v_mac_f32_e32 v3, 0xcf800000, v4
	v_cvt_u32_f32_e32 v4, v4
	v_cvt_u32_f32_e32 v3, v3
	v_mul_lo_u32 v6, s0, v4
	v_mul_hi_u32 v9, s0, v3
	v_mul_lo_u32 v13, s1, v3
	v_mul_lo_u32 v12, s0, v3
	v_add_u32_e32 v6, v9, v6
	v_add_u32_e32 v6, v6, v13
	v_mul_hi_u32 v9, v3, v12
	v_mul_lo_u32 v13, v3, v6
	v_mul_hi_u32 v15, v3, v6
	v_mul_hi_u32 v14, v4, v12
	v_mul_lo_u32 v12, v4, v12
	v_mul_hi_u32 v16, v4, v6
	v_add_co_u32_e32 v9, vcc, v9, v13
	v_addc_co_u32_e32 v13, vcc, 0, v15, vcc
	v_mul_lo_u32 v6, v4, v6
	v_add_co_u32_e32 v9, vcc, v9, v12
	v_addc_co_u32_e32 v9, vcc, v13, v14, vcc
	v_addc_co_u32_e32 v12, vcc, 0, v16, vcc
	v_add_co_u32_e32 v6, vcc, v9, v6
	v_addc_co_u32_e32 v9, vcc, 0, v12, vcc
	v_add_co_u32_e32 v3, vcc, v3, v6
	v_addc_co_u32_e32 v4, vcc, v4, v9, vcc
	v_mul_lo_u32 v6, s0, v4
	v_mul_hi_u32 v9, s0, v3
	v_mul_lo_u32 v12, s1, v3
	v_mul_lo_u32 v13, s0, v3
	v_add_u32_e32 v6, v9, v6
	v_add_u32_e32 v6, v6, v12
	v_mul_lo_u32 v14, v3, v6
	v_mul_hi_u32 v15, v3, v13
	v_mul_hi_u32 v16, v3, v6
	v_mul_hi_u32 v12, v4, v13
	v_mul_lo_u32 v13, v4, v13
	v_mul_hi_u32 v9, v4, v6
	v_add_co_u32_e32 v14, vcc, v15, v14
	v_addc_co_u32_e32 v15, vcc, 0, v16, vcc
	v_mul_lo_u32 v6, v4, v6
	v_add_co_u32_e32 v13, vcc, v14, v13
	v_addc_co_u32_e32 v12, vcc, v15, v12, vcc
	v_addc_co_u32_e32 v9, vcc, 0, v9, vcc
	v_add_co_u32_e32 v6, vcc, v12, v6
	v_addc_co_u32_e32 v9, vcc, 0, v9, vcc
	v_add_co_u32_e32 v6, vcc, v3, v6
	v_addc_co_u32_e32 v9, vcc, v4, v9, vcc
	v_mad_u64_u32 v[3:4], s[0:1], v7, v9, 0
	v_mul_hi_u32 v12, v7, v6
	v_add_co_u32_e32 v14, vcc, v12, v3
	v_addc_co_u32_e32 v15, vcc, 0, v4, vcc
	v_mad_u64_u32 v[3:4], s[0:1], v8, v6, 0
	v_mad_u64_u32 v[12:13], s[0:1], v8, v9, 0
	v_add_co_u32_e32 v3, vcc, v14, v3
	v_addc_co_u32_e32 v3, vcc, v15, v4, vcc
	v_addc_co_u32_e32 v4, vcc, 0, v13, vcc
	v_add_co_u32_e32 v6, vcc, v3, v12
	v_addc_co_u32_e32 v9, vcc, 0, v4, vcc
	v_mul_lo_u32 v12, s25, v6
	v_mul_lo_u32 v13, s24, v9
	v_mad_u64_u32 v[3:4], s[0:1], s24, v6, 0
	v_add3_u32 v4, v4, v13, v12
	v_sub_u32_e32 v12, v8, v4
	v_mov_b32_e32 v13, s25
	v_sub_co_u32_e32 v3, vcc, v7, v3
	v_subb_co_u32_e64 v12, s[0:1], v12, v13, vcc
	v_subrev_co_u32_e64 v13, s[0:1], s24, v3
	v_subbrev_co_u32_e64 v12, s[0:1], 0, v12, s[0:1]
	v_cmp_le_u32_e64 s[0:1], s25, v12
	v_cndmask_b32_e64 v14, 0, -1, s[0:1]
	v_cmp_le_u32_e64 s[0:1], s24, v13
	v_cndmask_b32_e64 v13, 0, -1, s[0:1]
	v_cmp_eq_u32_e64 s[0:1], s25, v12
	v_cndmask_b32_e64 v12, v14, v13, s[0:1]
	v_add_co_u32_e64 v13, s[0:1], 2, v6
	v_addc_co_u32_e64 v14, s[0:1], 0, v9, s[0:1]
	v_add_co_u32_e64 v15, s[0:1], 1, v6
	v_addc_co_u32_e64 v16, s[0:1], 0, v9, s[0:1]
	v_subb_co_u32_e32 v4, vcc, v8, v4, vcc
	v_cmp_ne_u32_e64 s[0:1], 0, v12
	v_cmp_le_u32_e32 vcc, s25, v4
	v_cndmask_b32_e64 v12, v16, v14, s[0:1]
	v_cndmask_b32_e64 v14, 0, -1, vcc
	v_cmp_le_u32_e32 vcc, s24, v3
	v_cndmask_b32_e64 v3, 0, -1, vcc
	v_cmp_eq_u32_e32 vcc, s25, v4
	v_cndmask_b32_e32 v3, v14, v3, vcc
	v_cmp_ne_u32_e32 vcc, 0, v3
	v_cndmask_b32_e64 v3, v15, v13, s[0:1]
	v_cndmask_b32_e32 v4, v9, v12, vcc
	v_cndmask_b32_e32 v3, v6, v3, vcc
.LBB0_4:                                ;   in Loop: Header=BB0_2 Depth=1
	s_andn2_saveexec_b64 s[0:1], s[26:27]
	s_cbranch_execz .LBB0_6
; %bb.5:                                ;   in Loop: Header=BB0_2 Depth=1
	v_cvt_f32_u32_e32 v3, s24
	s_sub_i32 s26, 0, s24
	v_rcp_iflag_f32_e32 v3, v3
	v_mul_f32_e32 v3, 0x4f7ffffe, v3
	v_cvt_u32_f32_e32 v3, v3
	v_mul_lo_u32 v4, s26, v3
	v_mul_hi_u32 v4, v3, v4
	v_add_u32_e32 v3, v3, v4
	v_mul_hi_u32 v3, v7, v3
	v_mul_lo_u32 v4, v3, s24
	v_add_u32_e32 v6, 1, v3
	v_sub_u32_e32 v4, v7, v4
	v_subrev_u32_e32 v9, s24, v4
	v_cmp_le_u32_e32 vcc, s24, v4
	v_cndmask_b32_e32 v4, v4, v9, vcc
	v_cndmask_b32_e32 v3, v3, v6, vcc
	v_add_u32_e32 v6, 1, v3
	v_cmp_le_u32_e32 vcc, s24, v4
	v_cndmask_b32_e32 v3, v3, v6, vcc
	v_mov_b32_e32 v4, v5
.LBB0_6:                                ;   in Loop: Header=BB0_2 Depth=1
	s_or_b64 exec, exec, s[0:1]
	v_mul_lo_u32 v6, v4, s24
	v_mul_lo_u32 v9, v3, s25
	v_mad_u64_u32 v[12:13], s[0:1], v3, s24, 0
	s_load_dwordx2 s[0:1], s[6:7], 0x0
	s_load_dwordx2 s[24:25], s[2:3], 0x0
	v_add3_u32 v6, v13, v9, v6
	v_sub_co_u32_e32 v7, vcc, v7, v12
	v_subb_co_u32_e32 v6, vcc, v8, v6, vcc
	s_waitcnt lgkmcnt(0)
	v_mul_lo_u32 v8, s0, v6
	v_mul_lo_u32 v9, s1, v7
	v_mad_u64_u32 v[10:11], s[0:1], s0, v7, v[10:11]
	v_mul_lo_u32 v6, s24, v6
	v_mul_lo_u32 v12, s25, v7
	v_mad_u64_u32 v[1:2], s[0:1], s24, v7, v[1:2]
	s_add_u32 s22, s22, 1
	s_addc_u32 s23, s23, 0
	s_add_u32 s2, s2, 8
	v_add3_u32 v2, v12, v2, v6
	s_addc_u32 s3, s3, 0
	v_mov_b32_e32 v6, s14
	s_add_u32 s6, s6, 8
	v_mov_b32_e32 v7, s15
	s_addc_u32 s7, s7, 0
	v_cmp_ge_u64_e32 vcc, s[22:23], v[6:7]
	s_add_u32 s20, s20, 8
	v_add3_u32 v11, v9, v11, v8
	s_addc_u32 s21, s21, 0
	s_cbranch_vccnz .LBB0_9
; %bb.7:                                ;   in Loop: Header=BB0_2 Depth=1
	v_mov_b32_e32 v8, v4
	v_mov_b32_e32 v7, v3
	s_branch .LBB0_2
.LBB0_8:
	v_mov_b32_e32 v1, v10
	v_mov_b32_e32 v3, v7
	;; [unrolled: 1-line block ×4, first 2 shown]
.LBB0_9:
	s_load_dwordx2 s[4:5], s[4:5], 0x28
	s_lshl_b64 s[6:7], s[14:15], 3
	s_add_u32 s2, s18, s6
	s_addc_u32 s3, s19, s7
                                        ; implicit-def: $vgpr5
                                        ; implicit-def: $vgpr7
                                        ; implicit-def: $vgpr9
	s_waitcnt lgkmcnt(0)
	v_cmp_gt_u64_e64 s[0:1], s[4:5], v[3:4]
	v_cmp_le_u64_e32 vcc, s[4:5], v[3:4]
	s_and_saveexec_b64 s[4:5], vcc
	s_xor_b64 s[4:5], exec, s[4:5]
; %bb.10:
	s_mov_b32 s14, 0x1745d18
	v_mul_hi_u32 v5, v0, s14
                                        ; implicit-def: $vgpr10_vgpr11
	v_mul_u32_u24_e32 v5, 0xb0, v5
	v_sub_u32_e32 v5, v0, v5
	v_add_u32_e32 v7, 0xb0, v5
	v_add_u32_e32 v9, 0x160, v5
                                        ; implicit-def: $vgpr0
; %bb.11:
	s_andn2_saveexec_b64 s[4:5], s[4:5]
	s_cbranch_execz .LBB0_13
; %bb.12:
	s_add_u32 s6, s16, s6
	s_addc_u32 s7, s17, s7
	s_load_dwordx2 s[6:7], s[6:7], 0x0
	s_mov_b32 s14, 0x1745d18
	v_mul_hi_u32 v5, v0, s14
	s_waitcnt lgkmcnt(0)
	v_mul_lo_u32 v8, s7, v3
	v_mul_lo_u32 v9, s6, v4
	v_mad_u64_u32 v[6:7], s[6:7], s6, v3, 0
	v_mul_u32_u24_e32 v5, 0xb0, v5
	v_sub_u32_e32 v5, v0, v5
	v_add3_u32 v7, v7, v9, v8
	v_lshlrev_b64 v[6:7], 2, v[6:7]
	v_mov_b32_e32 v0, s9
	v_add_co_u32_e32 v8, vcc, s8, v6
	v_addc_co_u32_e32 v0, vcc, v0, v7, vcc
	v_lshlrev_b64 v[6:7], 2, v[10:11]
	v_lshlrev_b32_e32 v10, 2, v5
	v_add_co_u32_e32 v6, vcc, v8, v6
	v_addc_co_u32_e32 v0, vcc, v0, v7, vcc
	v_add_co_u32_e32 v6, vcc, v6, v10
	v_addc_co_u32_e32 v7, vcc, 0, v0, vcc
	;; [unrolled: 2-line block ×3, first 2 shown]
	global_load_dword v0, v[6:7], off
	global_load_dword v11, v[6:7], off offset:704
	global_load_dword v12, v[6:7], off offset:1408
	;; [unrolled: 1-line block ×8, first 2 shown]
	v_add_u32_e32 v7, 0xb0, v5
	v_add_u32_e32 v9, 0x160, v5
	v_add_u32_e32 v6, 0, v10
	v_add_u32_e32 v8, 0x500, v6
	v_add_u32_e32 v10, 0xa00, v6
	v_add_u32_e32 v19, 0x1000, v6
	s_waitcnt vmcnt(7)
	ds_write2_b32 v6, v0, v11 offset1:176
	s_waitcnt vmcnt(5)
	ds_write2_b32 v8, v12, v13 offset0:32 offset1:208
	s_waitcnt vmcnt(3)
	ds_write2_b32 v10, v14, v15 offset0:64 offset1:240
	;; [unrolled: 2-line block ×3, first 2 shown]
	s_waitcnt vmcnt(0)
	ds_write_b32 v6, v18 offset:5632
.LBB0_13:
	s_or_b64 exec, exec, s[4:5]
	v_lshl_add_u32 v0, v5, 2, 0
	v_add_u32_e32 v6, 0x400, v0
	v_add_u32_e32 v10, 0xc00, v0
	s_load_dwordx2 s[4:5], s[2:3], 0x0
	s_waitcnt lgkmcnt(0)
	s_barrier
	ds_read2_b32 v[11:12], v6 offset0:96 offset1:140
	v_add_u32_e32 v6, 0x1000, v0
	ds_read2_b32 v[13:14], v0 offset1:176
	ds_read2_b32 v[15:16], v10 offset0:24 offset1:200
	ds_read2_b32 v[17:18], v6 offset0:120 offset1:164
	v_cmp_gt_u32_e32 vcc, 44, v5
	s_waitcnt lgkmcnt(1)
	v_pk_add_f16 v6, v13, v15 neg_lo:[0,1] neg_hi:[0,1]
	s_waitcnt lgkmcnt(0)
	v_pk_add_f16 v8, v12, v18 neg_lo:[0,1] neg_hi:[0,1]
	v_alignbit_b32 v15, s0, v8, 16
	v_alignbit_b32 v19, s0, v6, 16
	v_pk_add_f16 v15, v6, v15 neg_lo:[0,1] neg_hi:[0,1]
	v_lshrrev_b32_e32 v18, 16, v6
	v_pk_add_f16 v22, v19, v8
	v_fma_f16 v19, v6, 2.0, -v15
	v_fma_f16 v18, v18, 2.0, -v22
	v_pk_fma_f16 v6, v13, 2.0, v6 op_sel_hi:[1,0,1] neg_lo:[0,0,1] neg_hi:[0,0,1]
	v_pk_fma_f16 v8, v12, 2.0, v8 op_sel_hi:[1,0,1] neg_lo:[0,0,1] neg_hi:[0,0,1]
	v_pack_b32_f16 v23, v19, v18
	v_add_u32_e32 v18, 0x800, v0
	v_pk_add_f16 v24, v6, v8 neg_lo:[0,1] neg_hi:[0,1]
	v_add_u32_e32 v8, 0x1500, v0
	ds_read2_b32 v[18:19], v18 offset0:60 offset1:236
	ds_read2_b32 v[20:21], v8 offset0:20 offset1:196
	v_pk_fma_f16 v6, v6, 2.0, v24 op_sel_hi:[1,0,1] neg_lo:[0,0,1] neg_hi:[0,0,1]
	v_mad_u32_u24 v12, v5, 12, v0
	s_waitcnt lgkmcnt(0)
	s_barrier
	ds_write2_b32 v12, v6, v23 offset1:1
	v_pk_add_f16 v8, v11, v17 neg_lo:[0,1] neg_hi:[0,1]
	v_pk_add_f16 v16, v14, v16 neg_lo:[0,1] neg_hi:[0,1]
	;; [unrolled: 1-line block ×4, first 2 shown]
	v_pk_fma_f16 v21, v14, 2.0, v16 op_sel_hi:[1,0,1] neg_lo:[0,0,1] neg_hi:[0,0,1]
	v_pk_fma_f16 v18, v18, 2.0, v23 op_sel_hi:[1,0,1] neg_lo:[0,0,1] neg_hi:[0,0,1]
	v_lshrrev_b32_e32 v20, 16, v8
	v_pk_fma_f16 v6, v19, 2.0, v17 op_sel_hi:[1,0,1] neg_lo:[0,0,1] neg_hi:[0,0,1]
	v_sub_f16_sdwa v13, v8, v17 dst_sel:DWORD dst_unused:UNUSED_PAD src0_sel:DWORD src1_sel:WORD_1
	v_add_f16_e32 v14, v20, v17
	v_pack_b32_f16 v15, v15, v22
	v_pk_add_f16 v17, v21, v18 neg_lo:[0,1] neg_hi:[0,1]
	v_pk_fma_f16 v18, v21, 2.0, v17 op_sel_hi:[1,0,1] neg_lo:[0,0,1] neg_hi:[0,0,1]
	ds_write2_b32 v12, v24, v15 offset0:2 offset1:3
	v_alignbit_b32 v15, s0, v23, 16
	v_alignbit_b32 v21, s0, v16, 16
	v_pk_fma_f16 v11, v11, 2.0, v8 op_sel_hi:[1,0,1] neg_lo:[0,0,1] neg_hi:[0,0,1]
	v_pk_add_f16 v15, v16, v15 neg_lo:[0,1] neg_hi:[0,1]
	v_pk_add_f16 v21, v21, v23
	v_lshrrev_b32_e32 v22, 16, v16
	v_pk_add_f16 v6, v11, v6 neg_lo:[0,1] neg_hi:[0,1]
	v_fma_f16 v16, v16, 2.0, -v15
	v_fma_f16 v22, v22, 2.0, -v21
	v_pk_fma_f16 v11, v11, 2.0, v6 op_sel_hi:[1,0,1] neg_lo:[0,0,1] neg_hi:[0,0,1]
	v_fma_f16 v19, v8, 2.0, -v13
	v_fma_f16 v20, v20, 2.0, -v14
	v_lshl_add_u32 v8, v7, 4, 0
	v_pack_b32_f16 v16, v16, v22
	v_pack_b32_f16 v15, v15, v21
	ds_write2_b32 v8, v18, v16 offset1:1
	ds_write2_b32 v8, v17, v15 offset0:2 offset1:3
	s_and_saveexec_b64 s[2:3], vcc
	s_cbranch_execz .LBB0_15
; %bb.14:
	s_mov_b32 s6, 0x5040100
	v_lshl_add_u32 v15, v9, 4, 0
	v_perm_b32 v16, v20, v19, s6
	v_perm_b32 v13, v14, v13, s6
	ds_write2_b32 v15, v11, v16 offset1:1
	ds_write2_b32 v15, v6, v13 offset0:2 offset1:3
.LBB0_15:
	s_or_b64 exec, exec, s[2:3]
	s_waitcnt lgkmcnt(0)
	s_barrier
	ds_read_b32 v23, v0
	ds_read2_b32 v[14:15], v10 offset0:24 offset1:200
	v_mad_i32_i24 v10, v7, -12, v8
	v_mad_i32_i24 v13, v5, -12, v12
	v_lshl_add_u32 v25, v9, 2, 0
	ds_read_b32 v26, v13 offset:2112
	ds_read_b32 v27, v10
	ds_read_b32 v28, v25
	v_add_u32_e32 v10, 0x1100, v0
	ds_read2_b32 v[16:17], v10 offset0:56 offset1:232
	v_mul_i32_i24_e32 v10, -12, v5
	s_movk_i32 s2, 0x58
	v_cmp_gt_u32_e32 vcc, s2, v5
	v_add_u32_e32 v24, v12, v10
	s_and_saveexec_b64 s[2:3], vcc
	s_cbranch_execz .LBB0_17
; %bb.16:
	ds_read_b32 v19, v0 offset:5984
	ds_read_b32 v11, v24 offset:2816
	s_waitcnt lgkmcnt(1)
	v_lshrrev_b32_e32 v20, 16, v19
.LBB0_17:
	s_or_b64 exec, exec, s[2:3]
	v_and_b32_e32 v29, 3, v5
	v_lshlrev_b32_e32 v10, 2, v29
	global_load_dword v21, v10, s[12:13]
	s_mov_b32 s3, 0xffff
	v_lshlrev_b32_e32 v10, 1, v5
	s_movk_i32 s2, 0x1f8
	v_lshlrev_b32_e32 v13, 1, v7
	s_movk_i32 s7, 0x3f8
	;; [unrolled: 2-line block ×3, first 2 shown]
	s_waitcnt lgkmcnt(0)
	v_lshrrev_b32_e32 v22, 16, v11
	v_and_or_b32 v32, v10, s2, v29
	v_add_u32_e32 v18, 0x420, v10
	v_add_u32_e32 v31, 0x2c0, v5
	v_and_or_b32 v33, v13, s7, v29
	v_and_or_b32 v34, v12, s6, v29
	v_lshl_add_u32 v32, v32, 2, 0
	v_and_or_b32 v35, v18, s6, v29
	v_mul_i32_i24_e32 v30, -12, v7
	s_waitcnt vmcnt(0)
	s_barrier
	v_lshl_add_u32 v33, v33, 2, 0
	v_lshl_add_u32 v34, v34, 2, 0
	;; [unrolled: 1-line block ×3, first 2 shown]
	v_pk_mul_f16 v36, v21, v14 op_sel:[0,1]
	v_pk_mul_f16 v37, v21, v15 op_sel:[0,1]
	;; [unrolled: 1-line block ×4, first 2 shown]
	v_mul_f16_sdwa v40, v20, v21 dst_sel:DWORD dst_unused:UNUSED_PAD src0_sel:DWORD src1_sel:WORD_1
	v_pk_fma_f16 v42, v21, v14, v36 op_sel:[0,0,1] op_sel_hi:[1,1,0] neg_lo:[0,0,1] neg_hi:[0,0,1]
	v_pk_fma_f16 v14, v21, v14, v36 op_sel:[0,0,1] op_sel_hi:[1,0,0]
	v_mul_f16_sdwa v41, v19, v21 dst_sel:DWORD dst_unused:UNUSED_PAD src0_sel:DWORD src1_sel:WORD_1
	v_pk_fma_f16 v36, v21, v15, v37 op_sel:[0,0,1] op_sel_hi:[1,1,0] neg_lo:[0,0,1] neg_hi:[0,0,1]
	v_pk_fma_f16 v15, v21, v15, v37 op_sel:[0,0,1] op_sel_hi:[1,0,0]
	v_pk_fma_f16 v37, v21, v16, v38 op_sel:[0,0,1] op_sel_hi:[1,1,0] neg_lo:[0,0,1] neg_hi:[0,0,1]
	v_pk_fma_f16 v16, v21, v16, v38 op_sel:[0,0,1] op_sel_hi:[1,0,0]
	v_pk_fma_f16 v38, v21, v17, v39 op_sel:[0,0,1] op_sel_hi:[1,1,0] neg_lo:[0,0,1] neg_hi:[0,0,1]
	v_pk_fma_f16 v17, v21, v17, v39 op_sel:[0,0,1] op_sel_hi:[1,0,0]
	v_fma_f16 v19, v19, v21, -v40
	v_bfi_b32 v14, s3, v42, v14
	v_fma_f16 v20, v20, v21, v41
	v_bfi_b32 v15, s3, v36, v15
	v_bfi_b32 v16, s3, v37, v16
	v_bfi_b32 v17, s3, v38, v17
	v_sub_f16_e32 v19, v11, v19
	v_pk_add_f16 v14, v23, v14 neg_lo:[0,1] neg_hi:[0,1]
	v_sub_f16_e32 v21, v22, v20
	v_pk_add_f16 v15, v27, v15 neg_lo:[0,1] neg_hi:[0,1]
	v_pk_add_f16 v16, v28, v16 neg_lo:[0,1] neg_hi:[0,1]
	;; [unrolled: 1-line block ×3, first 2 shown]
	v_fma_f16 v20, v11, 2.0, -v19
	v_pk_fma_f16 v11, v23, 2.0, v14 op_sel_hi:[1,0,1] neg_lo:[0,0,1] neg_hi:[0,0,1]
	v_fma_f16 v22, v22, 2.0, -v21
	v_pk_fma_f16 v23, v27, 2.0, v15 op_sel_hi:[1,0,1] neg_lo:[0,0,1] neg_hi:[0,0,1]
	v_pk_fma_f16 v27, v28, 2.0, v16 op_sel_hi:[1,0,1] neg_lo:[0,0,1] neg_hi:[0,0,1]
	;; [unrolled: 1-line block ×3, first 2 shown]
	ds_write2_b32 v32, v11, v14 offset1:4
	ds_write2_b32 v33, v23, v15 offset1:4
	;; [unrolled: 1-line block ×4, first 2 shown]
	v_lshlrev_b32_e32 v11, 1, v31
	s_and_saveexec_b64 s[2:3], vcc
	s_cbranch_execz .LBB0_19
; %bb.18:
	v_and_or_b32 v14, v11, s6, v29
	s_mov_b32 s6, 0x5040100
	v_lshl_add_u32 v14, v14, 2, 0
	v_perm_b32 v15, v22, v20, s6
	v_perm_b32 v16, v21, v19, s6
	ds_write2_b32 v14, v15, v16 offset1:4
.LBB0_19:
	s_or_b64 exec, exec, s[2:3]
	v_add_u32_e32 v14, 0xc00, v0
	s_waitcnt lgkmcnt(0)
	s_barrier
	ds_read_b32 v23, v0
	ds_read2_b32 v[14:15], v14 offset0:24 offset1:200
	v_add_u32_e32 v26, v8, v30
	ds_read_b32 v32, v24 offset:2112
	ds_read_b32 v28, v26
	ds_read_b32 v33, v25
	v_add_u32_e32 v8, 0x1100, v0
	ds_read2_b32 v[16:17], v8 offset0:56 offset1:232
	s_and_saveexec_b64 s[2:3], vcc
	s_cbranch_execz .LBB0_21
; %bb.20:
	ds_read_b32 v20, v24 offset:2816
	ds_read_b32 v19, v0 offset:5984
	s_waitcnt lgkmcnt(1)
	v_lshrrev_b32_e32 v22, 16, v20
	s_waitcnt lgkmcnt(0)
	v_lshrrev_b32_e32 v21, 16, v19
.LBB0_21:
	s_or_b64 exec, exec, s[2:3]
	v_and_b32_e32 v34, 7, v5
	v_lshlrev_b32_e32 v8, 2, v34
	global_load_dword v8, v8, s[12:13] offset:16
	s_movk_i32 s2, 0x1f0
	s_movk_i32 s6, 0x7f0
	s_waitcnt lgkmcnt(4)
	v_lshrrev_b32_e32 v27, 16, v14
	v_lshrrev_b32_e32 v29, 16, v15
	v_and_or_b32 v30, v10, s2, v34
	v_and_or_b32 v18, v18, s6, v34
	v_lshl_add_u32 v38, v30, 2, 0
	v_lshl_add_u32 v39, v18, 2, 0
	v_lshrrev_b32_e32 v31, 16, v23
	s_mov_b32 s7, 0xffff
	s_waitcnt lgkmcnt(2)
	v_lshrrev_b32_e32 v35, 16, v28
	s_movk_i32 s3, 0x3f0
	v_and_or_b32 v36, v13, s3, v34
	v_and_or_b32 v37, v12, s6, v34
	s_waitcnt vmcnt(0) lgkmcnt(0)
	s_barrier
	v_lshl_add_u32 v36, v36, 2, 0
	v_lshl_add_u32 v37, v37, 2, 0
	v_mul_f16_sdwa v18, v8, v27 dst_sel:DWORD dst_unused:UNUSED_PAD src0_sel:WORD_1 src1_sel:DWORD
	v_mul_f16_sdwa v30, v8, v14 dst_sel:DWORD dst_unused:UNUSED_PAD src0_sel:WORD_1 src1_sel:DWORD
	;; [unrolled: 1-line block ×4, first 2 shown]
	v_pk_mul_f16 v42, v8, v17 op_sel:[0,1]
	v_pk_mul_f16 v43, v8, v16 op_sel:[0,1]
	v_mul_f16_sdwa v44, v21, v8 dst_sel:DWORD dst_unused:UNUSED_PAD src0_sel:DWORD src1_sel:WORD_1
	v_mul_f16_sdwa v45, v19, v8 dst_sel:DWORD dst_unused:UNUSED_PAD src0_sel:DWORD src1_sel:WORD_1
	v_fma_f16 v14, v8, v14, -v18
	v_fma_f16 v18, v8, v27, v30
	v_fma_f16 v27, v8, v15, -v40
	v_fma_f16 v30, v8, v29, v41
	v_pk_fma_f16 v40, v8, v17, v42 op_sel:[0,0,1] op_sel_hi:[1,1,0] neg_lo:[0,0,1] neg_hi:[0,0,1]
	v_pk_fma_f16 v17, v8, v17, v42 op_sel:[0,0,1] op_sel_hi:[1,0,0]
	v_pk_fma_f16 v41, v8, v16, v43 op_sel:[0,0,1] op_sel_hi:[1,1,0] neg_lo:[0,0,1] neg_hi:[0,0,1]
	v_pk_fma_f16 v16, v8, v16, v43 op_sel:[0,0,1] op_sel_hi:[1,0,0]
	v_fma_f16 v42, v19, v8, -v44
	v_fma_f16 v8, v21, v8, v45
	v_sub_f16_e32 v15, v23, v14
	v_sub_f16_e32 v29, v31, v18
	v_bfi_b32 v21, s7, v40, v17
	v_bfi_b32 v40, s7, v41, v16
	v_sub_f16_e32 v19, v28, v27
	v_sub_f16_e32 v30, v35, v30
	;; [unrolled: 1-line block ×4, first 2 shown]
	v_fma_f16 v14, v23, 2.0, -v15
	v_fma_f16 v8, v31, 2.0, -v29
	v_pk_add_f16 v21, v32, v21 neg_lo:[0,1] neg_hi:[0,1]
	v_pk_add_f16 v23, v33, v40 neg_lo:[0,1] neg_hi:[0,1]
	v_pack_b32_f16 v41, v15, v29
	v_fma_f16 v18, v28, 2.0, -v19
	v_fma_f16 v31, v35, 2.0, -v30
	;; [unrolled: 1-line block ×4, first 2 shown]
	v_pack_b32_f16 v40, v14, v8
	v_pk_fma_f16 v20, v32, 2.0, v21 op_sel_hi:[1,0,1] neg_lo:[0,0,1] neg_hi:[0,0,1]
	v_pk_fma_f16 v22, v33, 2.0, v23 op_sel_hi:[1,0,1] neg_lo:[0,0,1] neg_hi:[0,0,1]
	v_pack_b32_f16 v35, v19, v30
	v_pack_b32_f16 v42, v18, v31
	ds_write2_b32 v38, v40, v41 offset1:8
	ds_write2_b32 v36, v42, v35 offset1:8
	;; [unrolled: 1-line block ×4, first 2 shown]
	s_and_saveexec_b64 s[2:3], vcc
	s_cbranch_execz .LBB0_23
; %bb.22:
	v_and_or_b32 v11, v11, s6, v34
	s_mov_b32 s6, 0x5040100
	v_lshl_add_u32 v11, v11, 2, 0
	v_perm_b32 v32, v28, v16, s6
	v_perm_b32 v33, v27, v17, s6
	ds_write2_b32 v11, v32, v33 offset1:8
.LBB0_23:
	s_or_b64 exec, exec, s[2:3]
	s_movk_i32 s2, 0x90
	v_cmp_gt_u32_e64 s[2:3], s2, v5
	v_lshrrev_b32_e32 v32, 16, v20
	v_lshrrev_b32_e32 v34, 16, v21
	;; [unrolled: 1-line block ×4, first 2 shown]
	s_waitcnt lgkmcnt(0)
	s_barrier
	s_and_saveexec_b64 s[6:7], s[2:3]
	s_cbranch_execz .LBB0_25
; %bb.24:
	v_add_u32_e32 v6, 0x400, v0
	ds_read2_b32 v[14:15], v0 offset1:144
	v_add_u32_e32 v8, 0x1200, v0
	ds_read2_b32 v[18:19], v6 offset0:32 offset1:176
	ds_read2_b32 v[16:17], v8 offset1:144
	v_add_u32_e32 v6, 0x800, v0
	ds_read2_b32 v[22:23], v6 offset0:64 offset1:208
	v_add_u32_e32 v6, 0xc00, v0
	ds_read2_b32 v[20:21], v6 offset0:96 offset1:240
	ds_read_b32 v6, v0 offset:5760
	s_waitcnt lgkmcnt(5)
	v_lshrrev_b32_e32 v8, 16, v14
	s_waitcnt lgkmcnt(3)
	v_lshrrev_b32_e32 v28, 16, v16
	v_lshrrev_b32_e32 v27, 16, v17
	;; [unrolled: 1-line block ×5, first 2 shown]
	s_waitcnt lgkmcnt(2)
	v_lshrrev_b32_e32 v35, 16, v22
	v_lshrrev_b32_e32 v33, 16, v23
	s_waitcnt lgkmcnt(1)
	v_lshrrev_b32_e32 v32, 16, v20
	v_lshrrev_b32_e32 v34, 16, v21
.LBB0_25:
	s_or_b64 exec, exec, s[6:7]
	s_waitcnt lgkmcnt(0)
	s_barrier
	s_and_saveexec_b64 s[6:7], s[2:3]
	s_cbranch_execz .LBB0_27
; %bb.26:
	v_and_b32_e32 v11, 15, v5
	v_mul_u32_u24_e32 v36, 10, v11
	v_lshlrev_b32_e32 v46, 2, v36
	global_load_dwordx4 v[36:39], v46, s[12:13] offset:48
	global_load_dwordx2 v[44:45], v46, s[12:13] offset:80
	global_load_dwordx4 v[40:43], v46, s[12:13] offset:64
	v_lshrrev_b32_e32 v46, 16, v6
	s_movk_i32 s14, 0x3abb
	s_movk_i32 s8, 0x36a6
	s_mov_b32 s3, 0xb08e
	s_mov_b32 s2, 0xb93d
	;; [unrolled: 1-line block ×3, first 2 shown]
	s_movk_i32 s15, 0x3853
	s_movk_i32 s16, 0x3b47
	;; [unrolled: 1-line block ×5, first 2 shown]
	s_mov_b32 s20, 0xb482
	s_mov_b32 s21, 0xbbeb
	;; [unrolled: 1-line block ×4, first 2 shown]
	s_waitcnt vmcnt(2)
	v_mul_f16_sdwa v51, v15, v36 dst_sel:DWORD dst_unused:UNUSED_PAD src0_sel:DWORD src1_sel:WORD_1
	v_mul_f16_sdwa v52, v29, v36 dst_sel:DWORD dst_unused:UNUSED_PAD src0_sel:DWORD src1_sel:WORD_1
	s_waitcnt vmcnt(1)
	v_mul_f16_sdwa v55, v6, v45 dst_sel:DWORD dst_unused:UNUSED_PAD src0_sel:DWORD src1_sel:WORD_1
	v_mul_f16_sdwa v49, v30, v38 dst_sel:DWORD dst_unused:UNUSED_PAD src0_sel:DWORD src1_sel:WORD_1
	;; [unrolled: 1-line block ×4, first 2 shown]
	s_waitcnt vmcnt(0)
	v_mul_f16_sdwa v64, v23, v40 dst_sel:DWORD dst_unused:UNUSED_PAD src0_sel:DWORD src1_sel:WORD_1
	v_mul_f16_sdwa v65, v33, v40 dst_sel:DWORD dst_unused:UNUSED_PAD src0_sel:DWORD src1_sel:WORD_1
	v_fma_f16 v29, v29, v36, v51
	v_fma_f16 v15, v15, v36, -v52
	v_fma_f16 v36, v46, v45, v55
	v_mul_f16_sdwa v47, v18, v37 dst_sel:DWORD dst_unused:UNUSED_PAD src0_sel:DWORD src1_sel:WORD_1
	v_mul_f16_sdwa v48, v31, v37 dst_sel:DWORD dst_unused:UNUSED_PAD src0_sel:DWORD src1_sel:WORD_1
	;; [unrolled: 1-line block ×10, first 2 shown]
	v_fma_f16 v19, v19, v38, -v49
	v_fma_f16 v30, v30, v38, v50
	v_fma_f16 v6, v6, v45, -v56
	v_fma_f16 v33, v33, v40, v64
	v_fma_f16 v23, v23, v40, -v65
	v_sub_f16_e32 v38, v29, v36
	v_add_f16_e32 v40, v29, v36
	v_mul_f16_sdwa v63, v20, v41 dst_sel:DWORD dst_unused:UNUSED_PAD src0_sel:DWORD src1_sel:WORD_1
	v_mul_f16_sdwa v66, v32, v41 dst_sel:DWORD dst_unused:UNUSED_PAD src0_sel:DWORD src1_sel:WORD_1
	v_fma_f16 v18, v18, v37, -v48
	v_fma_f16 v31, v31, v37, v47
	v_fma_f16 v35, v35, v39, v53
	v_fma_f16 v22, v22, v39, -v54
	v_fma_f16 v27, v27, v44, v57
	v_fma_f16 v17, v17, v44, -v58
	v_fma_f16 v16, v16, v43, -v60
	v_fma_f16 v28, v28, v43, v59
	v_fma_f16 v34, v34, v42, v61
	v_fma_f16 v21, v21, v42, -v62
	v_add_f16_e32 v37, v15, v6
	v_add_f16_e32 v39, v14, v15
	v_sub_f16_e32 v15, v15, v6
	v_mul_f16_e32 v42, 0xb853, v38
	v_mul_f16_e32 v43, 0xbb47, v38
	;; [unrolled: 1-line block ×6, first 2 shown]
	v_fma_f16 v32, v32, v41, v63
	v_fma_f16 v20, v20, v41, -v66
	v_add_f16_e32 v41, v31, v27
	v_fma_f16 v48, v37, s8, v43
	v_fma_f16 v49, v37, s3, v44
	;; [unrolled: 1-line block ×4, first 2 shown]
	v_fma_f16 v38, v37, s9, -v38
	v_fma_f16 v45, v37, s2, -v45
	;; [unrolled: 1-line block ×4, first 2 shown]
	v_fma_f16 v52, v37, s14, v42
	v_fma_f16 v37, v37, s14, -v42
	v_fma_f16 v42, v15, s15, v46
	v_mul_f16_e32 v47, 0x36a6, v41
	v_add_f16_e32 v52, v14, v52
	v_add_f16_e32 v48, v14, v48
	;; [unrolled: 1-line block ×11, first 2 shown]
	v_sub_f16_e32 v42, v18, v17
	v_fma_f16 v53, v42, s16, v47
	v_add_f16_e32 v37, v53, v37
	v_add_f16_e32 v53, v30, v28
	v_mul_f16_e32 v54, 0xb08e, v53
	v_sub_f16_e32 v55, v19, v16
	v_fma_f16 v56, v55, s17, v54
	v_add_f16_e32 v37, v56, v37
	v_add_f16_e32 v56, v35, v34
	v_mul_f16_e32 v57, 0xb93d, v56
	;; [unrolled: 5-line block ×3, first 2 shown]
	v_sub_f16_e32 v61, v23, v20
	v_fma_f16 v62, v61, s18, v60
	v_sub_f16_e32 v63, v31, v27
	v_add_f16_e32 v37, v62, v37
	v_add_f16_e32 v62, v18, v17
	v_mul_f16_e32 v64, 0xbb47, v63
	v_fma_f16 v65, v62, s8, v64
	v_sub_f16_e32 v66, v30, v28
	v_add_f16_e32 v52, v65, v52
	v_add_f16_e32 v65, v19, v16
	v_mul_f16_e32 v67, 0xbbeb, v66
	v_fma_f16 v68, v65, s3, v67
	v_sub_f16_e32 v69, v35, v34
	v_add_f16_e32 v52, v68, v52
	v_add_f16_e32 v68, v22, v21
	v_mul_f16_e32 v70, 0xba0c, v69
	v_fma_f16 v71, v68, s2, v70
	v_sub_f16_e32 v72, v33, v32
	v_add_f16_e32 v52, v71, v52
	v_add_f16_e32 v71, v23, v20
	v_mul_f16_e32 v73, 0xb482, v72
	v_fma_f16 v74, v71, s9, v73
	v_add_f16_e32 v52, v74, v52
	v_mul_f16_e32 v74, 0x36a6, v40
	v_fma_f16 v75, v15, s16, v74
	v_mul_f16_e32 v76, 0xb93d, v41
	v_add_f16_e32 v75, v8, v75
	v_fma_f16 v77, v42, s19, v76
	v_add_f16_e32 v75, v77, v75
	v_mul_f16_e32 v77, 0xbbad, v53
	v_fma_f16 v78, v55, s20, v77
	v_add_f16_e32 v75, v78, v75
	v_mul_f16_e32 v78, 0xb08e, v56
	v_fma_f16 v79, v58, s21, v78
	v_add_f16_e32 v75, v79, v75
	v_mul_f16_e32 v79, 0x3abb, v59
	v_fma_f16 v80, v61, s22, v79
	v_add_f16_e32 v75, v80, v75
	v_mul_f16_e32 v80, 0xba0c, v63
	v_fma_f16 v81, v62, s2, v80
	v_add_f16_e32 v48, v81, v48
	v_mul_f16_e32 v81, 0x3482, v66
	v_fma_f16 v82, v65, s9, v81
	v_add_f16_e32 v48, v82, v48
	v_mul_f16_e32 v82, 0x3beb, v69
	v_fma_f16 v83, v68, s3, v82
	v_add_f16_e32 v48, v83, v48
	v_mul_f16_e32 v83, 0x3853, v72
	v_fma_f16 v84, v71, s14, v83
	v_add_f16_e32 v48, v84, v48
	v_mul_f16_e32 v84, 0xb08e, v40
	v_fma_f16 v85, v15, s17, v84
	v_mul_f16_e32 v86, 0xbbad, v41
	v_add_f16_e32 v85, v8, v85
	v_fma_f16 v87, v42, s20, v86
	v_add_f16_e32 v85, v87, v85
	v_mul_f16_e32 v87, 0x36a6, v53
	v_fma_f16 v88, v55, s23, v87
	v_add_f16_e32 v85, v88, v85
	v_mul_f16_e32 v88, 0x3abb, v56
	v_fma_f16 v89, v58, s15, v88
	v_add_f16_e32 v85, v89, v85
	v_mul_f16_e32 v89, 0xb93d, v59
	v_fma_f16 v90, v61, s19, v89
	v_add_f16_e32 v85, v90, v85
	v_mul_f16_e32 v90, 0x3482, v63
	v_fma_f16 v91, v62, s9, v90
	v_add_f16_e32 v49, v91, v49
	v_mul_f16_e32 v91, 0x3b47, v66
	v_fma_f16 v92, v65, s8, v91
	v_add_f16_e32 v49, v92, v49
	v_mul_f16_e32 v92, 0xb853, v69
	v_fma_f16 v93, v68, s14, v92
	v_add_f16_e32 v49, v93, v49
	v_mul_f16_e32 v93, 0xba0c, v72
	;; [unrolled: 27-line block ×3, first 2 shown]
	v_fma_f16 v104, v71, s8, v103
	v_mul_f16_e32 v40, 0xbbad, v40
	v_add_f16_e32 v50, v104, v50
	v_fma_f16 v104, v15, s18, v40
	v_mul_f16_e32 v41, 0x3abb, v41
	v_add_f16_e32 v104, v8, v104
	v_fma_f16 v105, v42, s22, v41
	v_mul_f16_e32 v53, 0xb93d, v53
	v_fma_f16 v40, v15, s20, v40
	v_add_f16_e32 v104, v105, v104
	v_fma_f16 v105, v55, s19, v53
	v_add_f16_e32 v40, v8, v40
	v_fma_f16 v41, v42, s15, v41
	s_mov_b32 s19, 0xba0c
	v_mul_f16_e32 v56, 0x36a6, v56
	v_add_f16_e32 v40, v41, v40
	v_fma_f16 v41, v55, s19, v53
	v_mul_f16_e32 v59, 0xb08e, v59
	v_add_f16_e32 v40, v41, v40
	v_fma_f16 v41, v58, s16, v56
	;; [unrolled: 3-line block ×3, first 2 shown]
	v_mul_f16_e32 v66, 0xba0c, v66
	v_add_f16_e32 v40, v41, v40
	v_fma_f16 v41, v62, s14, -v63
	v_mul_f16_e32 v69, 0x3b47, v69
	v_add_f16_e32 v38, v41, v38
	v_fma_f16 v41, v65, s2, -v66
	v_mul_f16_e32 v72, 0xbbeb, v72
	v_add_f16_e32 v38, v41, v38
	v_fma_f16 v41, v68, s8, -v69
	v_add_f16_e32 v38, v41, v38
	v_fma_f16 v41, v71, s3, -v72
	v_add_f16_e32 v38, v41, v38
	v_fma_f16 v41, v15, s19, v94
	v_add_f16_e32 v41, v8, v41
	v_fma_f16 v53, v42, s17, v96
	;; [unrolled: 2-line block ×5, first 2 shown]
	v_add_f16_e32 v41, v53, v41
	v_fma_f16 v53, v62, s3, -v100
	v_add_f16_e32 v45, v53, v45
	v_fma_f16 v53, v65, s14, -v101
	;; [unrolled: 2-line block ×4, first 2 shown]
	v_add_f16_e32 v45, v53, v45
	v_fma_f16 v53, v15, s21, v84
	v_add_f16_e32 v104, v105, v104
	v_fma_f16 v105, v58, s23, v56
	;; [unrolled: 2-line block ×6, first 2 shown]
	v_add_f16_e32 v53, v56, v53
	v_fma_f16 v56, v62, s9, -v90
	v_add_f16_e32 v44, v56, v44
	v_fma_f16 v56, v65, s8, -v91
	;; [unrolled: 2-line block ×4, first 2 shown]
	v_add_f16_e32 v44, v56, v44
	v_fma_f16 v56, v15, s23, v74
	v_fma_f16 v15, v15, s22, v46
	v_add_f16_e32 v18, v39, v18
	v_add_f16_e32 v56, v8, v56
	;; [unrolled: 1-line block ×6, first 2 shown]
	v_fma_f16 v105, v61, s17, v59
	v_fma_f16 v59, v42, s19, v76
	;; [unrolled: 1-line block ×3, first 2 shown]
	v_add_f16_e32 v18, v18, v22
	v_add_f16_e32 v8, v8, v31
	;; [unrolled: 1-line block ×3, first 2 shown]
	v_fma_f16 v42, v55, s21, v54
	v_add_f16_e32 v18, v18, v23
	v_add_f16_e32 v8, v8, v30
	v_add_f16_e32 v56, v59, v56
	v_fma_f16 v59, v55, s18, v77
	v_add_f16_e32 v15, v42, v15
	v_fma_f16 v42, v58, s19, v57
	v_add_f16_e32 v18, v18, v20
	v_add_f16_e32 v8, v8, v35
	v_add_f16_e32 v56, v59, v56
	v_fma_f16 v59, v58, s17, v78
	v_add_f16_e32 v15, v42, v15
	;; [unrolled: 6-line block ×3, first 2 shown]
	v_fma_f16 v42, v62, s8, -v64
	v_add_f16_e32 v16, v18, v16
	v_add_f16_e32 v8, v8, v32
	;; [unrolled: 1-line block ×3, first 2 shown]
	v_fma_f16 v59, v62, s2, -v80
	v_add_f16_e32 v14, v42, v14
	v_fma_f16 v42, v65, s3, -v67
	v_add_f16_e32 v16, v16, v17
	v_add_f16_e32 v8, v8, v34
	;; [unrolled: 1-line block ×3, first 2 shown]
	v_fma_f16 v59, v65, s9, -v81
	v_add_f16_e32 v14, v42, v14
	v_fma_f16 v42, v68, s2, -v70
	v_add_f16_e32 v6, v16, v6
	v_add_f16_e32 v8, v8, v28
	v_lshrrev_b32_e32 v16, 4, v5
	v_add_f16_e32 v104, v105, v104
	v_fma_f16 v105, v62, s14, v63
	v_add_f16_e32 v43, v59, v43
	v_fma_f16 v59, v68, s3, -v82
	v_add_f16_e32 v14, v42, v14
	v_fma_f16 v42, v71, s9, -v73
	v_add_f16_e32 v8, v8, v27
	v_mul_u32_u24_e32 v16, 0xb0, v16
	v_add_f16_e32 v51, v105, v51
	v_fma_f16 v105, v65, s2, v66
	v_add_f16_e32 v43, v59, v43
	v_fma_f16 v59, v71, s14, -v83
	v_add_f16_e32 v14, v42, v14
	v_add_f16_e32 v8, v8, v36
	v_or_b32_e32 v11, v16, v11
	v_add_f16_e32 v51, v105, v51
	v_fma_f16 v105, v68, s8, v69
	v_add_f16_e32 v43, v59, v43
	v_lshl_add_u32 v11, v11, 2, 0
	v_pack_b32_f16 v6, v6, v8
	v_pack_b32_f16 v8, v14, v15
	v_add_f16_e32 v51, v105, v51
	v_fma_f16 v105, v71, s3, v72
	ds_write2_b32 v11, v6, v8 offset1:16
	v_pack_b32_f16 v6, v43, v56
	v_pack_b32_f16 v8, v44, v53
	v_add_f16_e32 v51, v105, v51
	ds_write2_b32 v11, v6, v8 offset0:32 offset1:48
	v_pack_b32_f16 v6, v45, v41
	v_pack_b32_f16 v8, v38, v40
	ds_write2_b32 v11, v6, v8 offset0:64 offset1:80
	v_pack_b32_f16 v6, v51, v104
	v_pack_b32_f16 v8, v50, v95
	;; [unrolled: 3-line block ×3, first 2 shown]
	ds_write2_b32 v11, v6, v8 offset0:128 offset1:144
	v_pack_b32_f16 v6, v52, v37
	ds_write_b32 v11, v6 offset:640
.LBB0_27:
	s_or_b64 exec, exec, s[6:7]
	v_mov_b32_e32 v11, 0
	v_lshlrev_b64 v[14:15], 2, v[10:11]
	v_mov_b32_e32 v6, s13
	v_add_co_u32_e64 v16, s[2:3], s12, v14
	v_addc_co_u32_e64 v17, s[2:3], v6, v15, s[2:3]
	s_mov_b32 s2, 0xba2f
	v_mul_u32_u24_sdwa v8, v9, s2 dst_sel:DWORD dst_unused:UNUSED_PAD src0_sel:WORD_0 src1_sel:DWORD
	v_lshrrev_b32_e32 v8, 23, v8
	v_mul_lo_u16_e32 v8, 0xb0, v8
	v_sub_u16_e32 v8, v9, v8
	s_waitcnt lgkmcnt(0)
	s_barrier
	global_load_dwordx2 v[14:15], v[16:17], off offset:688
	v_lshlrev_b32_e32 v10, 3, v8
	global_load_dwordx2 v[18:19], v10, s[12:13] offset:688
	v_add_u32_e32 v29, 0xd00, v0
	ds_read2st64_b32 v[20:21], v0 offset1:11
	ds_read_b32 v10, v24 offset:2112
	v_add_u32_e32 v30, 0x1300, v0
	ds_read_b32 v31, v26
	ds_read_b32 v32, v25
	ds_read2_b32 v[22:23], v29 offset0:48 offset1:224
	ds_read2_b32 v[27:28], v30 offset0:16 offset1:192
	s_waitcnt lgkmcnt(5)
	v_lshrrev_b32_e32 v37, 16, v21
	s_waitcnt lgkmcnt(4)
	v_lshrrev_b32_e32 v36, 16, v10
	v_lshrrev_b32_e32 v33, 16, v20
	s_waitcnt lgkmcnt(1)
	v_lshrrev_b32_e32 v39, 16, v23
	s_waitcnt lgkmcnt(0)
	v_lshrrev_b32_e32 v40, 16, v27
	v_lshrrev_b32_e32 v38, 16, v28
	;; [unrolled: 1-line block ×4, first 2 shown]
	s_movk_i32 s6, 0x3aee
	s_mov_b32 s7, 0xbaee
	v_lshrrev_b32_e32 v35, 16, v32
	s_waitcnt vmcnt(0)
	s_barrier
	v_lshl_add_u32 v8, v8, 2, 0
	s_add_u32 s8, s12, 0x18b0
	s_addc_u32 s9, s13, 0
	v_mul_f16_sdwa v42, v14, v36 dst_sel:DWORD dst_unused:UNUSED_PAD src0_sel:WORD_1 src1_sel:DWORD
	v_mul_f16_sdwa v43, v14, v10 dst_sel:DWORD dst_unused:UNUSED_PAD src0_sel:WORD_1 src1_sel:DWORD
	;; [unrolled: 1-line block ×8, first 2 shown]
	v_fma_f16 v10, v14, v10, -v42
	v_fma_f16 v36, v14, v36, v43
	v_fma_f16 v23, v15, v23, -v44
	v_fma_f16 v39, v15, v39, v45
	;; [unrolled: 2-line block ×4, first 2 shown]
	v_mul_f16_sdwa v37, v18, v41 dst_sel:DWORD dst_unused:UNUSED_PAD src0_sel:WORD_1 src1_sel:DWORD
	v_mul_f16_sdwa v42, v38, v19 dst_sel:DWORD dst_unused:UNUSED_PAD src0_sel:DWORD src1_sel:WORD_1
	v_mul_f16_sdwa v40, v18, v22 dst_sel:DWORD dst_unused:UNUSED_PAD src0_sel:WORD_1 src1_sel:DWORD
	v_mul_f16_sdwa v43, v28, v19 dst_sel:DWORD dst_unused:UNUSED_PAD src0_sel:DWORD src1_sel:WORD_1
	v_add_f16_e32 v47, v33, v36
	v_sub_f16_e32 v50, v14, v15
	v_add_f16_e32 v51, v34, v14
	v_add_f16_e32 v14, v14, v15
	v_fma_f16 v22, v18, v22, -v37
	v_fma_f16 v28, v28, v19, -v42
	v_sub_f16_e32 v46, v36, v39
	v_add_f16_e32 v36, v36, v39
	v_add_f16_e32 v48, v31, v21
	;; [unrolled: 1-line block ×3, first 2 shown]
	v_sub_f16_e32 v21, v21, v27
	v_fma_f16 v18, v18, v41, v40
	v_fma_f16 v19, v38, v19, v43
	v_add_f16_e32 v37, v47, v39
	v_fma_f16 v14, v14, -0.5, v34
	v_add_f16_e32 v39, v22, v28
	v_add_f16_e32 v45, v10, v23
	v_fma_f16 v38, v21, s7, v14
	v_fma_f16 v14, v21, s6, v14
	v_add_f16_e32 v21, v32, v22
	v_fma_f16 v32, v39, -0.5, v32
	v_sub_f16_e32 v39, v18, v19
	v_add_f16_e32 v44, v20, v10
	v_sub_f16_e32 v10, v10, v23
	v_fma_f16 v20, v45, -0.5, v20
	v_fma_f16 v33, v36, -0.5, v33
	v_fma_f16 v40, v39, s6, v32
	v_fma_f16 v32, v39, s7, v32
	v_add_f16_e32 v39, v35, v18
	v_add_f16_e32 v18, v18, v19
	;; [unrolled: 1-line block ×3, first 2 shown]
	v_fma_f16 v34, v46, s6, v20
	v_fma_f16 v36, v10, s7, v33
	v_add_f16_e32 v39, v39, v19
	v_fma_f16 v18, v18, -0.5, v35
	v_sub_f16_e32 v19, v22, v28
	v_add_f16_e32 v27, v48, v27
	v_fma_f16 v31, v49, -0.5, v31
	v_add_f16_e32 v15, v51, v15
	v_fma_f16 v20, v46, s7, v20
	v_fma_f16 v10, v10, s6, v33
	;; [unrolled: 1-line block ×4, first 2 shown]
	v_pack_b32_f16 v19, v23, v37
	v_pack_b32_f16 v23, v34, v36
	v_fma_f16 v33, v50, s6, v31
	v_fma_f16 v31, v50, s7, v31
	ds_write2_b32 v0, v19, v23 offset1:176
	v_pack_b32_f16 v10, v20, v10
	v_pack_b32_f16 v15, v27, v15
	v_add_u32_e32 v19, 0x500, v0
	v_add_f16_e32 v21, v21, v28
	ds_write2_b32 v19, v10, v15 offset0:32 offset1:208
	v_pack_b32_f16 v10, v33, v38
	v_pack_b32_f16 v14, v31, v14
	v_add_u32_e32 v15, 0xa00, v0
	ds_write2_b32 v15, v10, v14 offset0:64 offset1:240
	v_pack_b32_f16 v10, v21, v39
	v_pack_b32_f16 v14, v40, v22
	v_add_u32_e32 v15, 0x1000, v8
	ds_write2_b32 v15, v10, v14 offset0:32 offset1:208
	v_mov_b32_e32 v14, v11
	v_lshlrev_b64 v[13:14], 2, v[13:14]
	v_pack_b32_f16 v10, v32, v18
	v_add_co_u32_e64 v13, s[2:3], s12, v13
	ds_write_b32 v8, v10 offset:5632
	s_waitcnt lgkmcnt(0)
	s_barrier
	v_addc_co_u32_e64 v14, s[2:3], v6, v14, s[2:3]
	global_load_dwordx2 v[18:19], v[16:17], off offset:2096
	global_load_dwordx2 v[20:21], v[13:14], off offset:2096
	v_mov_b32_e32 v13, v11
	v_lshlrev_b64 v[12:13], 2, v[12:13]
	v_add_co_u32_e64 v12, s[2:3], s12, v12
	v_addc_co_u32_e64 v13, s[2:3], v6, v13, s[2:3]
	global_load_dwordx2 v[12:13], v[12:13], off offset:2096
	ds_read2st64_b32 v[14:15], v0 offset1:11
	ds_read_b32 v6, v24 offset:2112
	ds_read_b32 v8, v26
	ds_read_b32 v10, v25
	ds_read2_b32 v[16:17], v30 offset0:16 offset1:192
	ds_read2_b32 v[22:23], v29 offset0:48 offset1:224
	s_waitcnt lgkmcnt(4)
	v_lshrrev_b32_e32 v31, 16, v6
	v_lshrrev_b32_e32 v33, 16, v15
	;; [unrolled: 1-line block ×3, first 2 shown]
	s_waitcnt lgkmcnt(1)
	v_lshrrev_b32_e32 v30, 16, v17
	s_waitcnt lgkmcnt(0)
	v_lshrrev_b32_e32 v35, 16, v22
	v_lshrrev_b32_e32 v32, 16, v23
	;; [unrolled: 1-line block ×5, first 2 shown]
	s_waitcnt vmcnt(0)
	s_barrier
	v_cmp_ne_u32_e64 s[2:3], 0, v5
	v_mul_f16_sdwa v36, v18, v31 dst_sel:DWORD dst_unused:UNUSED_PAD src0_sel:WORD_1 src1_sel:DWORD
	v_mul_f16_sdwa v37, v18, v6 dst_sel:DWORD dst_unused:UNUSED_PAD src0_sel:WORD_1 src1_sel:DWORD
	v_fma_f16 v6, v18, v6, -v36
	v_fma_f16 v18, v18, v31, v37
	v_mul_f16_sdwa v38, v19, v32 dst_sel:DWORD dst_unused:UNUSED_PAD src0_sel:WORD_1 src1_sel:DWORD
	v_mul_f16_sdwa v39, v19, v23 dst_sel:DWORD dst_unused:UNUSED_PAD src0_sel:WORD_1 src1_sel:DWORD
	v_fma_f16 v23, v19, v23, -v38
	v_fma_f16 v19, v19, v32, v39
	v_mul_f16_sdwa v40, v20, v33 dst_sel:DWORD dst_unused:UNUSED_PAD src0_sel:WORD_1 src1_sel:DWORD
	v_mul_f16_sdwa v44, v12, v35 dst_sel:DWORD dst_unused:UNUSED_PAD src0_sel:WORD_1 src1_sel:DWORD
	v_fma_f16 v31, v12, v22, -v44
	v_mul_f16_sdwa v22, v12, v22 dst_sel:DWORD dst_unused:UNUSED_PAD src0_sel:WORD_1 src1_sel:DWORD
	v_fma_f16 v12, v12, v35, v22
	v_mul_f16_sdwa v22, v30, v13 dst_sel:DWORD dst_unused:UNUSED_PAD src0_sel:DWORD src1_sel:WORD_1
	v_fma_f16 v22, v17, v13, -v22
	v_mul_f16_sdwa v17, v17, v13 dst_sel:DWORD dst_unused:UNUSED_PAD src0_sel:DWORD src1_sel:WORD_1
	v_fma_f16 v13, v30, v13, v17
	v_add_f16_e32 v30, v6, v23
	v_mul_f16_sdwa v42, v21, v34 dst_sel:DWORD dst_unused:UNUSED_PAD src0_sel:WORD_1 src1_sel:DWORD
	v_add_f16_e32 v17, v14, v6
	v_fma_f16 v14, v30, -0.5, v14
	v_sub_f16_e32 v30, v18, v19
	v_mul_f16_sdwa v41, v20, v15 dst_sel:DWORD dst_unused:UNUSED_PAD src0_sel:WORD_1 src1_sel:DWORD
	v_mul_f16_sdwa v43, v21, v16 dst_sel:DWORD dst_unused:UNUSED_PAD src0_sel:WORD_1 src1_sel:DWORD
	v_fma_f16 v15, v20, v15, -v40
	v_fma_f16 v16, v21, v16, -v42
	v_fma_f16 v32, v30, s6, v14
	v_fma_f16 v14, v30, s7, v14
	v_add_f16_e32 v30, v27, v18
	v_add_f16_e32 v18, v18, v19
	v_fma_f16 v20, v20, v33, v41
	v_fma_f16 v21, v21, v34, v43
	v_add_f16_e32 v17, v17, v23
	v_fma_f16 v18, v18, -0.5, v27
	v_sub_f16_e32 v6, v6, v23
	v_add_f16_e32 v23, v15, v16
	v_add_f16_e32 v30, v30, v19
	v_fma_f16 v19, v6, s7, v18
	v_fma_f16 v6, v6, s6, v18
	v_add_f16_e32 v18, v8, v15
	v_fma_f16 v8, v23, -0.5, v8
	v_sub_f16_e32 v23, v20, v21
	v_fma_f16 v27, v23, s6, v8
	v_fma_f16 v8, v23, s7, v8
	v_add_f16_e32 v23, v28, v20
	v_add_f16_e32 v20, v20, v21
	;; [unrolled: 1-line block ×3, first 2 shown]
	v_fma_f16 v20, v20, -0.5, v28
	v_sub_f16_e32 v15, v15, v16
	v_add_f16_e32 v21, v31, v22
	v_add_f16_e32 v18, v18, v16
	v_fma_f16 v16, v15, s7, v20
	v_fma_f16 v15, v15, s6, v20
	v_add_f16_e32 v20, v10, v31
	v_fma_f16 v10, v21, -0.5, v10
	v_sub_f16_e32 v21, v12, v13
	v_fma_f16 v28, v21, s6, v10
	v_fma_f16 v10, v21, s7, v10
	v_add_f16_e32 v21, v29, v12
	v_add_f16_e32 v12, v12, v13
	;; [unrolled: 1-line block ×3, first 2 shown]
	v_fma_f16 v12, v12, -0.5, v29
	v_sub_f16_e32 v13, v31, v22
	v_add_f16_e32 v20, v20, v22
	v_fma_f16 v22, v13, s7, v12
	v_fma_f16 v12, v13, s6, v12
	v_pack_b32_f16 v13, v17, v30
	v_pack_b32_f16 v6, v14, v6
	ds_write_b32 v0, v13
	v_pack_b32_f16 v13, v32, v19
	ds_write_b32 v0, v6 offset:4224
	v_pack_b32_f16 v6, v18, v23
	ds_write_b32 v0, v13 offset:2112
	ds_write_b32 v26, v6
	v_pack_b32_f16 v6, v27, v16
	ds_write_b32 v26, v6 offset:2112
	v_pack_b32_f16 v6, v8, v15
	ds_write_b32 v26, v6 offset:4224
	v_pack_b32_f16 v6, v20, v21
	ds_write_b32 v25, v6
	v_pack_b32_f16 v6, v28, v22
	ds_write_b32 v25, v6 offset:2112
	v_pack_b32_f16 v6, v10, v12
	ds_write_b32 v25, v6 offset:4224
	s_waitcnt lgkmcnt(0)
	s_barrier
	ds_read_b32 v8, v0
	v_lshlrev_b32_e32 v6, 2, v5
	v_sub_u32_e32 v14, 0, v6
                                        ; implicit-def: $vgpr17
                                        ; implicit-def: $vgpr16
                                        ; implicit-def: $vgpr15
                                        ; implicit-def: $vgpr12_vgpr13
	s_and_saveexec_b64 s[6:7], s[2:3]
	s_xor_b64 s[6:7], exec, s[6:7]
	s_cbranch_execz .LBB0_29
; %bb.28:
	v_mov_b32_e32 v6, v11
	v_lshlrev_b64 v[10:11], 2, v[5:6]
	v_mov_b32_e32 v12, s9
	v_add_co_u32_e64 v10, s[2:3], s8, v10
	v_addc_co_u32_e64 v11, s[2:3], v12, v11, s[2:3]
	global_load_dword v10, v[10:11], off
	ds_read_b32 v11, v14 offset:6336
	s_waitcnt lgkmcnt(0)
	v_add_f16_sdwa v13, v11, v8 dst_sel:DWORD dst_unused:UNUSED_PAD src0_sel:WORD_1 src1_sel:WORD_1
	v_sub_f16_e32 v15, v8, v11
	v_add_f16_e32 v12, v11, v8
	v_sub_f16_sdwa v8, v8, v11 dst_sel:DWORD dst_unused:UNUSED_PAD src0_sel:WORD_1 src1_sel:WORD_1
	v_mul_f16_e32 v11, 0.5, v13
	v_mul_f16_e32 v13, 0.5, v15
	;; [unrolled: 1-line block ×3, first 2 shown]
	s_waitcnt vmcnt(0)
	v_lshrrev_b32_e32 v15, 16, v10
	v_mul_f16_e32 v16, v15, v13
	v_fma_f16 v17, v11, v15, v8
	v_fma_f16 v8, v11, v15, -v8
	v_fma_f16 v18, v12, 0.5, v16
	v_fma_f16 v12, v12, 0.5, -v16
	v_fma_f16 v15, -v10, v13, v17
	v_fma_f16 v17, -v10, v13, v8
	v_fma_f16 v8, v10, v11, v18
	v_fma_f16 v16, -v10, v11, v12
	v_mov_b32_e32 v13, v6
	ds_write_b16 v0, v8
	v_mov_b32_e32 v12, v5
                                        ; implicit-def: $vgpr8
.LBB0_29:
	s_andn2_saveexec_b64 s[2:3], s[6:7]
	s_cbranch_execz .LBB0_31
; %bb.30:
	v_mov_b32_e32 v15, 0
	ds_read_u16 v6, v15 offset:3170
	v_mov_b32_e32 v12, 0
	s_waitcnt lgkmcnt(1)
	v_add_f16_sdwa v10, v8, v8 dst_sel:DWORD dst_unused:UNUSED_PAD src0_sel:WORD_1 src1_sel:DWORD
	v_sub_f16_sdwa v16, v8, v8 dst_sel:DWORD dst_unused:UNUSED_PAD src0_sel:DWORD src1_sel:WORD_1
	v_mov_b32_e32 v13, 0
	s_waitcnt lgkmcnt(0)
	v_xor_b32_e32 v6, 0x8000, v6
	v_mov_b32_e32 v17, 0
	ds_write_b16 v0, v10
	ds_write_b16 v15, v6 offset:3170
.LBB0_31:
	s_or_b64 exec, exec, s[2:3]
	s_waitcnt lgkmcnt(0)
	v_mov_b32_e32 v8, 0
	v_lshlrev_b64 v[6:7], 2, v[7:8]
	v_mov_b32_e32 v10, s9
	v_add_co_u32_e64 v6, s[2:3], s8, v6
	v_addc_co_u32_e64 v7, s[2:3], v10, v7, s[2:3]
	global_load_dword v11, v[6:7], off
	v_mov_b32_e32 v10, v8
	v_lshlrev_b64 v[6:7], 2, v[9:10]
	v_mov_b32_e32 v18, s9
	v_add_co_u32_e64 v6, s[2:3], s8, v6
	v_addc_co_u32_e64 v7, s[2:3], v18, v7, s[2:3]
	global_load_dword v8, v[6:7], off
	v_lshlrev_b64 v[6:7], 2, v[12:13]
	v_mov_b32_e32 v9, s9
	v_add_co_u32_e64 v6, s[2:3], s8, v6
	v_addc_co_u32_e64 v7, s[2:3], v9, v7, s[2:3]
	global_load_dword v9, v[6:7], off offset:2112
	s_mov_b32 s2, 0x5040100
	v_perm_b32 v10, v17, v16, s2
	ds_write_b16 v0, v15 offset:2
	ds_write_b32 v14, v10 offset:6336
	ds_read_b32 v12, v14 offset:5632
	ds_read_b32 v10, v26
	s_mov_b32 s6, 0xffff
	s_waitcnt lgkmcnt(0)
	v_pk_add_f16 v13, v10, v12 neg_lo:[0,1] neg_hi:[0,1]
	v_pk_add_f16 v10, v10, v12
	v_bfi_b32 v12, s6, v13, v10
	v_bfi_b32 v10, s6, v10, v13
	v_pk_mul_f16 v12, v12, 0.5 op_sel_hi:[1,0]
	v_pk_mul_f16 v10, v10, 0.5 op_sel_hi:[1,0]
	s_waitcnt vmcnt(2)
	v_pk_fma_f16 v13, v11, v12, v10 op_sel:[1,0,0]
	v_pk_mul_f16 v15, v11, v12 op_sel_hi:[0,1]
	v_pk_fma_f16 v16, v11, v12, v10 op_sel:[1,0,0] neg_lo:[1,0,0] neg_hi:[1,0,0]
	v_pk_fma_f16 v10, v11, v12, v10 op_sel:[1,0,0] neg_lo:[0,0,1] neg_hi:[0,0,1]
	v_pk_add_f16 v11, v13, v15 op_sel:[0,1] op_sel_hi:[1,0]
	v_pk_add_f16 v12, v13, v15 op_sel:[0,1] op_sel_hi:[1,0] neg_lo:[0,1] neg_hi:[0,1]
	v_pk_add_f16 v13, v16, v15 op_sel:[0,1] op_sel_hi:[1,0] neg_lo:[0,1] neg_hi:[0,1]
	;; [unrolled: 1-line block ×3, first 2 shown]
	v_bfi_b32 v11, s6, v11, v12
	v_bfi_b32 v10, s6, v13, v10
	ds_write_b32 v26, v11
	ds_write_b32 v14, v10 offset:5632
	ds_read_b32 v10, v25
	ds_read_b32 v11, v14 offset:4928
	s_waitcnt lgkmcnt(0)
	v_pk_add_f16 v12, v10, v11 neg_lo:[0,1] neg_hi:[0,1]
	v_pk_add_f16 v10, v10, v11
	v_bfi_b32 v11, s6, v12, v10
	v_bfi_b32 v10, s6, v10, v12
	v_pk_mul_f16 v11, v11, 0.5 op_sel_hi:[1,0]
	v_pk_mul_f16 v10, v10, 0.5 op_sel_hi:[1,0]
	s_waitcnt vmcnt(1)
	v_pk_fma_f16 v12, v8, v11, v10 op_sel:[1,0,0]
	v_pk_mul_f16 v13, v8, v11 op_sel_hi:[0,1]
	v_pk_fma_f16 v15, v8, v11, v10 op_sel:[1,0,0] neg_lo:[1,0,0] neg_hi:[1,0,0]
	v_pk_fma_f16 v8, v8, v11, v10 op_sel:[1,0,0] neg_lo:[0,0,1] neg_hi:[0,0,1]
	v_pk_add_f16 v10, v12, v13 op_sel:[0,1] op_sel_hi:[1,0]
	v_pk_add_f16 v11, v12, v13 op_sel:[0,1] op_sel_hi:[1,0] neg_lo:[0,1] neg_hi:[0,1]
	v_pk_add_f16 v12, v15, v13 op_sel:[0,1] op_sel_hi:[1,0] neg_lo:[0,1] neg_hi:[0,1]
	;; [unrolled: 1-line block ×3, first 2 shown]
	v_bfi_b32 v10, s6, v10, v11
	v_bfi_b32 v8, s6, v12, v8
	ds_write_b32 v25, v10
	ds_write_b32 v14, v8 offset:4928
	ds_read_b32 v8, v24 offset:2112
	ds_read_b32 v10, v14 offset:4224
	s_waitcnt lgkmcnt(0)
	v_pk_add_f16 v11, v8, v10 neg_lo:[0,1] neg_hi:[0,1]
	v_pk_add_f16 v8, v8, v10
	v_bfi_b32 v10, s6, v11, v8
	v_bfi_b32 v8, s6, v8, v11
	v_pk_mul_f16 v10, v10, 0.5 op_sel_hi:[1,0]
	v_pk_mul_f16 v8, v8, 0.5 op_sel_hi:[1,0]
	s_waitcnt vmcnt(0)
	v_pk_fma_f16 v11, v9, v10, v8 op_sel:[1,0,0]
	v_pk_mul_f16 v12, v9, v10 op_sel_hi:[0,1]
	v_pk_fma_f16 v13, v9, v10, v8 op_sel:[1,0,0] neg_lo:[1,0,0] neg_hi:[1,0,0]
	v_pk_fma_f16 v8, v9, v10, v8 op_sel:[1,0,0] neg_lo:[0,0,1] neg_hi:[0,0,1]
	v_pk_add_f16 v9, v11, v12 op_sel:[0,1] op_sel_hi:[1,0]
	v_pk_add_f16 v10, v11, v12 op_sel:[0,1] op_sel_hi:[1,0] neg_lo:[0,1] neg_hi:[0,1]
	v_pk_add_f16 v11, v13, v12 op_sel:[0,1] op_sel_hi:[1,0] neg_lo:[0,1] neg_hi:[0,1]
	v_pk_add_f16 v8, v8, v12 op_sel:[0,1] op_sel_hi:[1,0] neg_lo:[0,1] neg_hi:[0,1]
	v_bfi_b32 v9, s6, v9, v10
	v_bfi_b32 v8, s6, v11, v8
	ds_write_b32 v24, v9 offset:2112
	ds_write_b32 v14, v8 offset:4224
	s_and_saveexec_b64 s[2:3], vcc
	s_cbranch_execz .LBB0_33
; %bb.32:
	global_load_dword v6, v[6:7], off offset:2816
	ds_read_b32 v7, v0 offset:2816
	ds_read_b32 v8, v14 offset:3520
	s_waitcnt lgkmcnt(0)
	v_pk_add_f16 v9, v7, v8 neg_lo:[0,1] neg_hi:[0,1]
	v_pk_add_f16 v7, v7, v8
	v_bfi_b32 v8, s6, v9, v7
	v_bfi_b32 v7, s6, v7, v9
	v_pk_mul_f16 v8, v8, 0.5 op_sel_hi:[1,0]
	v_pk_mul_f16 v7, v7, 0.5 op_sel_hi:[1,0]
	s_waitcnt vmcnt(0)
	v_pk_fma_f16 v9, v6, v8, v7 op_sel:[1,0,0]
	v_pk_mul_f16 v10, v6, v8 op_sel_hi:[0,1]
	v_pk_fma_f16 v11, v6, v8, v7 op_sel:[1,0,0] neg_lo:[1,0,0] neg_hi:[1,0,0]
	v_pk_fma_f16 v6, v6, v8, v7 op_sel:[1,0,0] neg_lo:[0,0,1] neg_hi:[0,0,1]
	v_pk_add_f16 v7, v9, v10 op_sel:[0,1] op_sel_hi:[1,0]
	v_pk_add_f16 v8, v9, v10 op_sel:[0,1] op_sel_hi:[1,0] neg_lo:[0,1] neg_hi:[0,1]
	v_pk_add_f16 v9, v11, v10 op_sel:[0,1] op_sel_hi:[1,0] neg_lo:[0,1] neg_hi:[0,1]
	;; [unrolled: 1-line block ×3, first 2 shown]
	v_bfi_b32 v7, s6, v7, v8
	v_bfi_b32 v6, s6, v9, v6
	ds_write_b32 v0, v7 offset:2816
	ds_write_b32 v14, v6 offset:3520
.LBB0_33:
	s_or_b64 exec, exec, s[2:3]
	s_waitcnt lgkmcnt(0)
	s_barrier
	s_and_saveexec_b64 s[2:3], s[0:1]
	s_cbranch_execz .LBB0_36
; %bb.34:
	v_mul_lo_u32 v0, s5, v3
	v_mul_lo_u32 v6, s4, v4
	v_mad_u64_u32 v[3:4], s[0:1], s4, v3, 0
	v_lshlrev_b64 v[1:2], 2, v[1:2]
	v_lshl_add_u32 v9, v5, 2, 0
	v_add3_u32 v4, v4, v6, v0
	v_lshlrev_b64 v[3:4], 2, v[3:4]
	v_mov_b32_e32 v0, s11
	v_add_co_u32_e32 v3, vcc, s10, v3
	v_addc_co_u32_e32 v0, vcc, v0, v4, vcc
	v_mov_b32_e32 v6, 0
	ds_read2_b32 v[7:8], v9 offset1:176
	v_add_co_u32_e32 v1, vcc, v3, v1
	v_addc_co_u32_e32 v0, vcc, v0, v2, vcc
	v_lshlrev_b64 v[2:3], 2, v[5:6]
	v_add_u32_e32 v4, 0x500, v9
	v_add_co_u32_e32 v2, vcc, v1, v2
	v_addc_co_u32_e32 v3, vcc, v0, v3, vcc
	s_waitcnt lgkmcnt(0)
	global_store_dword v[2:3], v7, off
	v_add_u32_e32 v2, 0xb0, v5
	v_mov_b32_e32 v3, v6
	v_lshlrev_b64 v[2:3], 2, v[2:3]
	s_movk_i32 s0, 0xaf
	v_add_co_u32_e32 v2, vcc, v1, v2
	v_addc_co_u32_e32 v3, vcc, v0, v3, vcc
	global_store_dword v[2:3], v8, off
	v_add_u32_e32 v2, 0x160, v5
	v_mov_b32_e32 v3, v6
	ds_read2_b32 v[7:8], v4 offset0:32 offset1:208
	v_lshlrev_b64 v[2:3], 2, v[2:3]
	v_add_u32_e32 v4, 0xa00, v9
	v_add_co_u32_e32 v2, vcc, v1, v2
	v_addc_co_u32_e32 v3, vcc, v0, v3, vcc
	s_waitcnt lgkmcnt(0)
	global_store_dword v[2:3], v7, off
	v_add_u32_e32 v2, 0x210, v5
	v_mov_b32_e32 v3, v6
	v_lshlrev_b64 v[2:3], 2, v[2:3]
	v_add_co_u32_e32 v2, vcc, v1, v2
	v_addc_co_u32_e32 v3, vcc, v0, v3, vcc
	global_store_dword v[2:3], v8, off
	v_add_u32_e32 v2, 0x2c0, v5
	v_mov_b32_e32 v3, v6
	ds_read2_b32 v[7:8], v4 offset0:64 offset1:240
	v_lshlrev_b64 v[2:3], 2, v[2:3]
	v_add_u32_e32 v4, 0x1000, v9
	v_add_co_u32_e32 v2, vcc, v1, v2
	v_addc_co_u32_e32 v3, vcc, v0, v3, vcc
	s_waitcnt lgkmcnt(0)
	global_store_dword v[2:3], v7, off
	v_add_u32_e32 v2, 0x370, v5
	v_mov_b32_e32 v3, v6
	v_lshlrev_b64 v[2:3], 2, v[2:3]
	v_add_co_u32_e32 v2, vcc, v1, v2
	v_addc_co_u32_e32 v3, vcc, v0, v3, vcc
	global_store_dword v[2:3], v8, off
	v_add_u32_e32 v2, 0x420, v5
	v_mov_b32_e32 v3, v6
	ds_read2_b32 v[7:8], v4 offset0:32 offset1:208
	v_lshlrev_b64 v[2:3], 2, v[2:3]
	ds_read_b32 v4, v9 offset:5632
	v_add_co_u32_e32 v2, vcc, v1, v2
	v_addc_co_u32_e32 v3, vcc, v0, v3, vcc
	s_waitcnt lgkmcnt(1)
	global_store_dword v[2:3], v7, off
	v_add_u32_e32 v2, 0x4d0, v5
	v_mov_b32_e32 v3, v6
	v_lshlrev_b64 v[2:3], 2, v[2:3]
	v_add_co_u32_e32 v2, vcc, v1, v2
	v_addc_co_u32_e32 v3, vcc, v0, v3, vcc
	global_store_dword v[2:3], v8, off
	v_add_u32_e32 v2, 0x580, v5
	v_mov_b32_e32 v3, v6
	v_lshlrev_b64 v[2:3], 2, v[2:3]
	v_add_co_u32_e32 v2, vcc, v1, v2
	v_addc_co_u32_e32 v3, vcc, v0, v3, vcc
	v_cmp_eq_u32_e32 vcc, s0, v5
	s_waitcnt lgkmcnt(0)
	global_store_dword v[2:3], v4, off
	s_and_b64 exec, exec, vcc
	s_cbranch_execz .LBB0_36
; %bb.35:
	ds_read_b32 v3, v6 offset:6336
	v_add_co_u32_e32 v1, vcc, 0x1000, v1
	v_addc_co_u32_e32 v2, vcc, 0, v0, vcc
	s_waitcnt lgkmcnt(0)
	global_store_dword v[1:2], v3, off offset:2240
.LBB0_36:
	s_endpgm
	.section	.rodata,"a",@progbits
	.p2align	6, 0x0
	.amdhsa_kernel fft_rtc_fwd_len1584_factors_4_2_2_11_3_3_wgs_176_tpt_176_halfLds_half_op_CI_CI_unitstride_sbrr_R2C_dirReg
		.amdhsa_group_segment_fixed_size 0
		.amdhsa_private_segment_fixed_size 0
		.amdhsa_kernarg_size 104
		.amdhsa_user_sgpr_count 6
		.amdhsa_user_sgpr_private_segment_buffer 1
		.amdhsa_user_sgpr_dispatch_ptr 0
		.amdhsa_user_sgpr_queue_ptr 0
		.amdhsa_user_sgpr_kernarg_segment_ptr 1
		.amdhsa_user_sgpr_dispatch_id 0
		.amdhsa_user_sgpr_flat_scratch_init 0
		.amdhsa_user_sgpr_private_segment_size 0
		.amdhsa_uses_dynamic_stack 0
		.amdhsa_system_sgpr_private_segment_wavefront_offset 0
		.amdhsa_system_sgpr_workgroup_id_x 1
		.amdhsa_system_sgpr_workgroup_id_y 0
		.amdhsa_system_sgpr_workgroup_id_z 0
		.amdhsa_system_sgpr_workgroup_info 0
		.amdhsa_system_vgpr_workitem_id 0
		.amdhsa_next_free_vgpr 106
		.amdhsa_next_free_sgpr 28
		.amdhsa_reserve_vcc 1
		.amdhsa_reserve_flat_scratch 0
		.amdhsa_float_round_mode_32 0
		.amdhsa_float_round_mode_16_64 0
		.amdhsa_float_denorm_mode_32 3
		.amdhsa_float_denorm_mode_16_64 3
		.amdhsa_dx10_clamp 1
		.amdhsa_ieee_mode 1
		.amdhsa_fp16_overflow 0
		.amdhsa_exception_fp_ieee_invalid_op 0
		.amdhsa_exception_fp_denorm_src 0
		.amdhsa_exception_fp_ieee_div_zero 0
		.amdhsa_exception_fp_ieee_overflow 0
		.amdhsa_exception_fp_ieee_underflow 0
		.amdhsa_exception_fp_ieee_inexact 0
		.amdhsa_exception_int_div_zero 0
	.end_amdhsa_kernel
	.text
.Lfunc_end0:
	.size	fft_rtc_fwd_len1584_factors_4_2_2_11_3_3_wgs_176_tpt_176_halfLds_half_op_CI_CI_unitstride_sbrr_R2C_dirReg, .Lfunc_end0-fft_rtc_fwd_len1584_factors_4_2_2_11_3_3_wgs_176_tpt_176_halfLds_half_op_CI_CI_unitstride_sbrr_R2C_dirReg
                                        ; -- End function
	.section	.AMDGPU.csdata,"",@progbits
; Kernel info:
; codeLenInByte = 9200
; NumSgprs: 32
; NumVgprs: 106
; ScratchSize: 0
; MemoryBound: 0
; FloatMode: 240
; IeeeMode: 1
; LDSByteSize: 0 bytes/workgroup (compile time only)
; SGPRBlocks: 3
; VGPRBlocks: 26
; NumSGPRsForWavesPerEU: 32
; NumVGPRsForWavesPerEU: 106
; Occupancy: 2
; WaveLimiterHint : 1
; COMPUTE_PGM_RSRC2:SCRATCH_EN: 0
; COMPUTE_PGM_RSRC2:USER_SGPR: 6
; COMPUTE_PGM_RSRC2:TRAP_HANDLER: 0
; COMPUTE_PGM_RSRC2:TGID_X_EN: 1
; COMPUTE_PGM_RSRC2:TGID_Y_EN: 0
; COMPUTE_PGM_RSRC2:TGID_Z_EN: 0
; COMPUTE_PGM_RSRC2:TIDIG_COMP_CNT: 0
	.type	__hip_cuid_b319799eb9820557,@object ; @__hip_cuid_b319799eb9820557
	.section	.bss,"aw",@nobits
	.globl	__hip_cuid_b319799eb9820557
__hip_cuid_b319799eb9820557:
	.byte	0                               ; 0x0
	.size	__hip_cuid_b319799eb9820557, 1

	.ident	"AMD clang version 19.0.0git (https://github.com/RadeonOpenCompute/llvm-project roc-6.4.0 25133 c7fe45cf4b819c5991fe208aaa96edf142730f1d)"
	.section	".note.GNU-stack","",@progbits
	.addrsig
	.addrsig_sym __hip_cuid_b319799eb9820557
	.amdgpu_metadata
---
amdhsa.kernels:
  - .args:
      - .actual_access:  read_only
        .address_space:  global
        .offset:         0
        .size:           8
        .value_kind:     global_buffer
      - .offset:         8
        .size:           8
        .value_kind:     by_value
      - .actual_access:  read_only
        .address_space:  global
        .offset:         16
        .size:           8
        .value_kind:     global_buffer
      - .actual_access:  read_only
        .address_space:  global
        .offset:         24
        .size:           8
        .value_kind:     global_buffer
      - .actual_access:  read_only
        .address_space:  global
        .offset:         32
        .size:           8
        .value_kind:     global_buffer
      - .offset:         40
        .size:           8
        .value_kind:     by_value
      - .actual_access:  read_only
        .address_space:  global
        .offset:         48
        .size:           8
        .value_kind:     global_buffer
      - .actual_access:  read_only
        .address_space:  global
        .offset:         56
        .size:           8
        .value_kind:     global_buffer
      - .offset:         64
        .size:           4
        .value_kind:     by_value
      - .actual_access:  read_only
        .address_space:  global
        .offset:         72
        .size:           8
        .value_kind:     global_buffer
      - .actual_access:  read_only
        .address_space:  global
        .offset:         80
        .size:           8
        .value_kind:     global_buffer
      - .actual_access:  read_only
        .address_space:  global
        .offset:         88
        .size:           8
        .value_kind:     global_buffer
      - .actual_access:  write_only
        .address_space:  global
        .offset:         96
        .size:           8
        .value_kind:     global_buffer
    .group_segment_fixed_size: 0
    .kernarg_segment_align: 8
    .kernarg_segment_size: 104
    .language:       OpenCL C
    .language_version:
      - 2
      - 0
    .max_flat_workgroup_size: 176
    .name:           fft_rtc_fwd_len1584_factors_4_2_2_11_3_3_wgs_176_tpt_176_halfLds_half_op_CI_CI_unitstride_sbrr_R2C_dirReg
    .private_segment_fixed_size: 0
    .sgpr_count:     32
    .sgpr_spill_count: 0
    .symbol:         fft_rtc_fwd_len1584_factors_4_2_2_11_3_3_wgs_176_tpt_176_halfLds_half_op_CI_CI_unitstride_sbrr_R2C_dirReg.kd
    .uniform_work_group_size: 1
    .uses_dynamic_stack: false
    .vgpr_count:     106
    .vgpr_spill_count: 0
    .wavefront_size: 64
amdhsa.target:   amdgcn-amd-amdhsa--gfx906
amdhsa.version:
  - 1
  - 2
...

	.end_amdgpu_metadata
